;; amdgpu-corpus repo=ROCm/rocFFT kind=compiled arch=gfx906 opt=O3
	.text
	.amdgcn_target "amdgcn-amd-amdhsa--gfx906"
	.amdhsa_code_object_version 6
	.protected	fft_rtc_back_len130_factors_13_10_wgs_52_tpt_13_half_ip_CI_sbrr_dirReg ; -- Begin function fft_rtc_back_len130_factors_13_10_wgs_52_tpt_13_half_ip_CI_sbrr_dirReg
	.globl	fft_rtc_back_len130_factors_13_10_wgs_52_tpt_13_half_ip_CI_sbrr_dirReg
	.p2align	8
	.type	fft_rtc_back_len130_factors_13_10_wgs_52_tpt_13_half_ip_CI_sbrr_dirReg,@function
fft_rtc_back_len130_factors_13_10_wgs_52_tpt_13_half_ip_CI_sbrr_dirReg: ; @fft_rtc_back_len130_factors_13_10_wgs_52_tpt_13_half_ip_CI_sbrr_dirReg
; %bb.0:
	s_load_dwordx2 s[14:15], s[4:5], 0x18
	s_load_dwordx4 s[8:11], s[4:5], 0x0
	s_load_dwordx2 s[12:13], s[4:5], 0x50
	v_mul_u32_u24_e32 v1, 0x13b2, v0
	v_lshrrev_b32_e32 v9, 16, v1
	s_waitcnt lgkmcnt(0)
	s_load_dwordx2 s[2:3], s[14:15], 0x0
	v_cmp_lt_u64_e64 s[0:1], s[10:11], 2
	v_mov_b32_e32 v3, 0
	v_mov_b32_e32 v1, 0
	v_lshl_add_u32 v5, s6, 2, v9
	v_mov_b32_e32 v6, v3
	s_and_b64 vcc, exec, s[0:1]
	v_mov_b32_e32 v2, 0
	s_cbranch_vccnz .LBB0_8
; %bb.1:
	s_load_dwordx2 s[0:1], s[4:5], 0x10
	s_add_u32 s6, s14, 8
	s_addc_u32 s7, s15, 0
	v_mov_b32_e32 v1, 0
	v_mov_b32_e32 v2, 0
	s_waitcnt lgkmcnt(0)
	s_add_u32 s16, s0, 8
	s_addc_u32 s17, s1, 0
	s_mov_b64 s[18:19], 1
.LBB0_2:                                ; =>This Inner Loop Header: Depth=1
	s_load_dwordx2 s[20:21], s[16:17], 0x0
                                        ; implicit-def: $vgpr7_vgpr8
	s_waitcnt lgkmcnt(0)
	v_or_b32_e32 v4, s21, v6
	v_cmp_ne_u64_e32 vcc, 0, v[3:4]
	s_and_saveexec_b64 s[0:1], vcc
	s_xor_b64 s[22:23], exec, s[0:1]
	s_cbranch_execz .LBB0_4
; %bb.3:                                ;   in Loop: Header=BB0_2 Depth=1
	v_cvt_f32_u32_e32 v4, s20
	v_cvt_f32_u32_e32 v7, s21
	s_sub_u32 s0, 0, s20
	s_subb_u32 s1, 0, s21
	v_mac_f32_e32 v4, 0x4f800000, v7
	v_rcp_f32_e32 v4, v4
	v_mul_f32_e32 v4, 0x5f7ffffc, v4
	v_mul_f32_e32 v7, 0x2f800000, v4
	v_trunc_f32_e32 v7, v7
	v_mac_f32_e32 v4, 0xcf800000, v7
	v_cvt_u32_f32_e32 v7, v7
	v_cvt_u32_f32_e32 v4, v4
	v_mul_lo_u32 v8, s0, v7
	v_mul_hi_u32 v10, s0, v4
	v_mul_lo_u32 v12, s1, v4
	v_mul_lo_u32 v11, s0, v4
	v_add_u32_e32 v8, v10, v8
	v_add_u32_e32 v8, v8, v12
	v_mul_hi_u32 v10, v4, v11
	v_mul_lo_u32 v12, v4, v8
	v_mul_hi_u32 v14, v4, v8
	v_mul_hi_u32 v13, v7, v11
	v_mul_lo_u32 v11, v7, v11
	v_mul_hi_u32 v15, v7, v8
	v_add_co_u32_e32 v10, vcc, v10, v12
	v_addc_co_u32_e32 v12, vcc, 0, v14, vcc
	v_mul_lo_u32 v8, v7, v8
	v_add_co_u32_e32 v10, vcc, v10, v11
	v_addc_co_u32_e32 v10, vcc, v12, v13, vcc
	v_addc_co_u32_e32 v11, vcc, 0, v15, vcc
	v_add_co_u32_e32 v8, vcc, v10, v8
	v_addc_co_u32_e32 v10, vcc, 0, v11, vcc
	v_add_co_u32_e32 v4, vcc, v4, v8
	v_addc_co_u32_e32 v7, vcc, v7, v10, vcc
	v_mul_lo_u32 v8, s0, v7
	v_mul_hi_u32 v10, s0, v4
	v_mul_lo_u32 v11, s1, v4
	v_mul_lo_u32 v12, s0, v4
	v_add_u32_e32 v8, v10, v8
	v_add_u32_e32 v8, v8, v11
	v_mul_lo_u32 v13, v4, v8
	v_mul_hi_u32 v14, v4, v12
	v_mul_hi_u32 v15, v4, v8
	v_mul_hi_u32 v11, v7, v12
	v_mul_lo_u32 v12, v7, v12
	v_mul_hi_u32 v10, v7, v8
	v_add_co_u32_e32 v13, vcc, v14, v13
	v_addc_co_u32_e32 v14, vcc, 0, v15, vcc
	v_mul_lo_u32 v8, v7, v8
	v_add_co_u32_e32 v12, vcc, v13, v12
	v_addc_co_u32_e32 v11, vcc, v14, v11, vcc
	v_addc_co_u32_e32 v10, vcc, 0, v10, vcc
	v_add_co_u32_e32 v8, vcc, v11, v8
	v_addc_co_u32_e32 v10, vcc, 0, v10, vcc
	v_add_co_u32_e32 v4, vcc, v4, v8
	v_addc_co_u32_e32 v10, vcc, v7, v10, vcc
	v_mad_u64_u32 v[7:8], s[0:1], v5, v10, 0
	v_mul_hi_u32 v11, v5, v4
	v_add_co_u32_e32 v12, vcc, v11, v7
	v_addc_co_u32_e32 v13, vcc, 0, v8, vcc
	v_mad_u64_u32 v[7:8], s[0:1], v6, v4, 0
	v_mad_u64_u32 v[10:11], s[0:1], v6, v10, 0
	v_add_co_u32_e32 v4, vcc, v12, v7
	v_addc_co_u32_e32 v4, vcc, v13, v8, vcc
	v_addc_co_u32_e32 v7, vcc, 0, v11, vcc
	v_add_co_u32_e32 v4, vcc, v4, v10
	v_addc_co_u32_e32 v10, vcc, 0, v7, vcc
	v_mul_lo_u32 v11, s21, v4
	v_mul_lo_u32 v12, s20, v10
	v_mad_u64_u32 v[7:8], s[0:1], s20, v4, 0
	v_add3_u32 v8, v8, v12, v11
	v_sub_u32_e32 v11, v6, v8
	v_mov_b32_e32 v12, s21
	v_sub_co_u32_e32 v7, vcc, v5, v7
	v_subb_co_u32_e64 v11, s[0:1], v11, v12, vcc
	v_subrev_co_u32_e64 v12, s[0:1], s20, v7
	v_subbrev_co_u32_e64 v11, s[0:1], 0, v11, s[0:1]
	v_cmp_le_u32_e64 s[0:1], s21, v11
	v_cndmask_b32_e64 v13, 0, -1, s[0:1]
	v_cmp_le_u32_e64 s[0:1], s20, v12
	v_cndmask_b32_e64 v12, 0, -1, s[0:1]
	v_cmp_eq_u32_e64 s[0:1], s21, v11
	v_cndmask_b32_e64 v11, v13, v12, s[0:1]
	v_add_co_u32_e64 v12, s[0:1], 2, v4
	v_addc_co_u32_e64 v13, s[0:1], 0, v10, s[0:1]
	v_add_co_u32_e64 v14, s[0:1], 1, v4
	v_addc_co_u32_e64 v15, s[0:1], 0, v10, s[0:1]
	v_subb_co_u32_e32 v8, vcc, v6, v8, vcc
	v_cmp_ne_u32_e64 s[0:1], 0, v11
	v_cmp_le_u32_e32 vcc, s21, v8
	v_cndmask_b32_e64 v11, v15, v13, s[0:1]
	v_cndmask_b32_e64 v13, 0, -1, vcc
	v_cmp_le_u32_e32 vcc, s20, v7
	v_cndmask_b32_e64 v7, 0, -1, vcc
	v_cmp_eq_u32_e32 vcc, s21, v8
	v_cndmask_b32_e32 v7, v13, v7, vcc
	v_cmp_ne_u32_e32 vcc, 0, v7
	v_cndmask_b32_e64 v7, v14, v12, s[0:1]
	v_cndmask_b32_e32 v8, v10, v11, vcc
	v_cndmask_b32_e32 v7, v4, v7, vcc
.LBB0_4:                                ;   in Loop: Header=BB0_2 Depth=1
	s_andn2_saveexec_b64 s[0:1], s[22:23]
	s_cbranch_execz .LBB0_6
; %bb.5:                                ;   in Loop: Header=BB0_2 Depth=1
	v_cvt_f32_u32_e32 v4, s20
	s_sub_i32 s22, 0, s20
	v_rcp_iflag_f32_e32 v4, v4
	v_mul_f32_e32 v4, 0x4f7ffffe, v4
	v_cvt_u32_f32_e32 v4, v4
	v_mul_lo_u32 v7, s22, v4
	v_mul_hi_u32 v7, v4, v7
	v_add_u32_e32 v4, v4, v7
	v_mul_hi_u32 v4, v5, v4
	v_mul_lo_u32 v7, v4, s20
	v_add_u32_e32 v8, 1, v4
	v_sub_u32_e32 v7, v5, v7
	v_subrev_u32_e32 v10, s20, v7
	v_cmp_le_u32_e32 vcc, s20, v7
	v_cndmask_b32_e32 v7, v7, v10, vcc
	v_cndmask_b32_e32 v4, v4, v8, vcc
	v_add_u32_e32 v8, 1, v4
	v_cmp_le_u32_e32 vcc, s20, v7
	v_cndmask_b32_e32 v7, v4, v8, vcc
	v_mov_b32_e32 v8, v3
.LBB0_6:                                ;   in Loop: Header=BB0_2 Depth=1
	s_or_b64 exec, exec, s[0:1]
	v_mul_lo_u32 v4, v8, s20
	v_mul_lo_u32 v12, v7, s21
	v_mad_u64_u32 v[10:11], s[0:1], v7, s20, 0
	s_load_dwordx2 s[0:1], s[6:7], 0x0
	s_add_u32 s18, s18, 1
	v_add3_u32 v4, v11, v12, v4
	v_sub_co_u32_e32 v5, vcc, v5, v10
	v_subb_co_u32_e32 v4, vcc, v6, v4, vcc
	s_waitcnt lgkmcnt(0)
	v_mul_lo_u32 v4, s0, v4
	v_mul_lo_u32 v6, s1, v5
	v_mad_u64_u32 v[1:2], s[0:1], s0, v5, v[1:2]
	s_addc_u32 s19, s19, 0
	s_add_u32 s6, s6, 8
	v_add3_u32 v2, v6, v2, v4
	v_mov_b32_e32 v4, s10
	v_mov_b32_e32 v5, s11
	s_addc_u32 s7, s7, 0
	v_cmp_ge_u64_e32 vcc, s[18:19], v[4:5]
	s_add_u32 s16, s16, 8
	s_addc_u32 s17, s17, 0
	s_cbranch_vccnz .LBB0_9
; %bb.7:                                ;   in Loop: Header=BB0_2 Depth=1
	v_mov_b32_e32 v5, v7
	v_mov_b32_e32 v6, v8
	s_branch .LBB0_2
.LBB0_8:
	v_mov_b32_e32 v8, v6
	v_mov_b32_e32 v7, v5
.LBB0_9:
	s_lshl_b64 s[0:1], s[10:11], 3
	s_add_u32 s0, s14, s0
	s_addc_u32 s1, s15, s1
	s_load_dwordx2 s[6:7], s[0:1], 0x0
	s_load_dwordx2 s[10:11], s[4:5], 0x20
	v_and_b32_e32 v5, 3, v9
	s_waitcnt lgkmcnt(0)
	v_mad_u64_u32 v[1:2], s[0:1], s6, v7, v[1:2]
	s_mov_b32 s0, 0x13b13b14
	v_mul_lo_u32 v3, s6, v8
	v_mul_lo_u32 v4, s7, v7
	v_mul_hi_u32 v6, v0, s0
	v_cmp_gt_u64_e32 vcc, s[10:11], v[7:8]
	v_add3_u32 v2, v4, v2, v3
	v_mul_u32_u24_e32 v4, 13, v6
	v_mul_u32_u24_e32 v3, 0x82, v5
	v_sub_u32_e32 v14, v0, v4
	v_lshlrev_b64 v[0:1], 2, v[1:2]
	v_lshlrev_b32_e32 v22, 2, v3
	v_lshlrev_b32_e32 v2, 2, v14
	v_add_u32_e32 v18, 13, v14
	v_add_u32_e32 v17, 26, v14
	;; [unrolled: 1-line block ×4, first 2 shown]
	s_and_saveexec_b64 s[4:5], vcc
	s_cbranch_execz .LBB0_11
; %bb.10:
	v_mad_u64_u32 v[3:4], s[0:1], s2, v14, 0
	v_mov_b32_e32 v7, s13
	v_add_u32_e32 v21, 0x41, v14
	v_mad_u64_u32 v[4:5], s[0:1], s3, v14, v[4:5]
	v_mad_u64_u32 v[5:6], s[0:1], s2, v18, 0
	v_add_co_u32_e64 v32, s[0:1], s12, v0
	v_addc_co_u32_e64 v33, s[0:1], v7, v1, s[0:1]
	v_mad_u64_u32 v[6:7], s[0:1], s3, v18, v[6:7]
	v_mad_u64_u32 v[7:8], s[0:1], s2, v17, 0
	v_lshlrev_b64 v[3:4], 2, v[3:4]
	v_lshlrev_b64 v[5:6], 2, v[5:6]
	v_add_co_u32_e64 v3, s[0:1], v32, v3
	v_addc_co_u32_e64 v4, s[0:1], v33, v4, s[0:1]
	v_mad_u64_u32 v[8:9], s[0:1], s3, v17, v[8:9]
	v_mad_u64_u32 v[9:10], s[0:1], s2, v16, 0
	v_add_co_u32_e64 v5, s[0:1], v32, v5
	v_addc_co_u32_e64 v6, s[0:1], v33, v6, s[0:1]
	v_lshlrev_b64 v[7:8], 2, v[7:8]
	v_mad_u64_u32 v[10:11], s[0:1], s3, v16, v[10:11]
	v_mad_u64_u32 v[11:12], s[0:1], s2, v15, 0
	v_add_co_u32_e64 v7, s[0:1], v32, v7
	v_addc_co_u32_e64 v8, s[0:1], v33, v8, s[0:1]
	v_mad_u64_u32 v[19:20], s[0:1], s2, v21, 0
	v_lshlrev_b64 v[9:10], 2, v[9:10]
	v_mad_u64_u32 v[12:13], s[0:1], s3, v15, v[12:13]
	v_add_co_u32_e64 v9, s[0:1], v32, v9
	v_mov_b32_e32 v13, v20
	v_addc_co_u32_e64 v10, s[0:1], v33, v10, s[0:1]
	v_mad_u64_u32 v[20:21], s[0:1], s3, v21, v[13:14]
	v_add_u32_e32 v21, 0x4e, v14
	v_mad_u64_u32 v[23:24], s[0:1], s2, v21, 0
	v_lshlrev_b64 v[11:12], 2, v[11:12]
	v_lshlrev_b64 v[19:20], 2, v[19:20]
	v_add_co_u32_e64 v11, s[0:1], v32, v11
	v_mov_b32_e32 v13, v24
	v_addc_co_u32_e64 v12, s[0:1], v33, v12, s[0:1]
	v_mad_u64_u32 v[24:25], s[0:1], s3, v21, v[13:14]
	v_add_u32_e32 v21, 0x5b, v14
	v_mad_u64_u32 v[25:26], s[0:1], s2, v21, 0
	v_add_co_u32_e64 v19, s[0:1], v32, v19
	v_mov_b32_e32 v13, v26
	v_addc_co_u32_e64 v20, s[0:1], v33, v20, s[0:1]
	v_mad_u64_u32 v[26:27], s[0:1], s3, v21, v[13:14]
	v_add_u32_e32 v21, 0x68, v14
	v_mad_u64_u32 v[27:28], s[0:1], s2, v21, 0
	v_lshlrev_b64 v[23:24], 2, v[23:24]
	v_lshlrev_b64 v[25:26], 2, v[25:26]
	v_add_co_u32_e64 v23, s[0:1], v32, v23
	v_mov_b32_e32 v13, v28
	v_addc_co_u32_e64 v24, s[0:1], v33, v24, s[0:1]
	v_mad_u64_u32 v[28:29], s[0:1], s3, v21, v[13:14]
	v_add_u32_e32 v21, 0x75, v14
	v_mad_u64_u32 v[29:30], s[0:1], s2, v21, 0
	v_add_co_u32_e64 v25, s[0:1], v32, v25
	v_mov_b32_e32 v13, v30
	v_addc_co_u32_e64 v26, s[0:1], v33, v26, s[0:1]
	v_mad_u64_u32 v[30:31], s[0:1], s3, v21, v[13:14]
	v_lshlrev_b64 v[27:28], 2, v[27:28]
	v_add_co_u32_e64 v27, s[0:1], v32, v27
	v_lshlrev_b64 v[29:30], 2, v[29:30]
	v_addc_co_u32_e64 v28, s[0:1], v33, v28, s[0:1]
	v_add_co_u32_e64 v29, s[0:1], v32, v29
	v_addc_co_u32_e64 v30, s[0:1], v33, v30, s[0:1]
	global_load_dword v13, v[3:4], off
	global_load_dword v21, v[5:6], off
	;; [unrolled: 1-line block ×10, first 2 shown]
	v_add3_u32 v3, 0, v22, v2
	s_waitcnt vmcnt(8)
	ds_write2_b32 v3, v13, v21 offset1:13
	s_waitcnt vmcnt(6)
	ds_write2_b32 v3, v31, v32 offset0:26 offset1:39
	s_waitcnt vmcnt(4)
	ds_write2_b32 v3, v33, v34 offset0:52 offset1:65
	;; [unrolled: 2-line block ×4, first 2 shown]
.LBB0_11:
	s_or_b64 exec, exec, s[4:5]
	v_add3_u32 v19, 0, v22, v2
	v_add_u32_e32 v23, 0, v2
	s_waitcnt lgkmcnt(0)
	; wave barrier
	s_waitcnt lgkmcnt(0)
	v_add_u32_e32 v20, v23, v22
	ds_read_b32 v21, v19
	ds_read2_b32 v[8:9], v20 offset0:10 offset1:20
	ds_read2_b32 v[6:7], v20 offset0:30 offset1:40
	ds_read2_b32 v[2:3], v20 offset0:50 offset1:60
	ds_read2_b32 v[4:5], v20 offset0:70 offset1:80
	ds_read2_b32 v[10:11], v20 offset0:90 offset1:100
	ds_read2_b32 v[12:13], v20 offset0:110 offset1:120
	v_cmp_gt_u32_e64 s[0:1], 10, v14
	s_waitcnt lgkmcnt(0)
	; wave barrier
	s_waitcnt lgkmcnt(0)
	s_and_saveexec_b64 s[4:5], s[0:1]
	s_cbranch_execz .LBB0_13
; %bb.12:
	v_pk_add_f16 v24, v21, v8
	v_mul_u32_u24_e32 v25, 48, v14
	v_add3_u32 v22, v23, v25, v22
	v_pk_add_f16 v23, v24, v9
	v_pk_add_f16 v23, v23, v6
	;; [unrolled: 1-line block ×12, first 2 shown]
	s_movk_i32 s0, 0x2fb7
	v_pk_add_f16 v8, v8, v13 neg_lo:[0,1] neg_hi:[0,1]
	v_pk_add_f16 v13, v12, v9
	v_pk_add_f16 v9, v9, v12 neg_lo:[0,1] neg_hi:[0,1]
	v_pk_add_f16 v12, v11, v6
	;; [unrolled: 2-line block ×5, first 2 shown]
	v_pk_add_f16 v3, v3, v4 neg_lo:[0,1] neg_hi:[0,1]
	s_mov_b32 s16, 0xbbc4
	s_movk_i32 s7, 0x3bf1
	v_mul_f16_sdwa v4, v23, s0 dst_sel:DWORD dst_unused:UNUSED_PAD src0_sel:WORD_1 src1_sel:DWORD
	s_movk_i32 s21, 0x33a8
	v_fma_f16 v25, v8, s7, v4
	v_mul_f16_sdwa v26, v13, s16 dst_sel:DWORD dst_unused:UNUSED_PAD src0_sel:WORD_1 src1_sel:DWORD
	s_mov_b32 s22, 0xb770
	v_add_f16_sdwa v25, v21, v25 dst_sel:DWORD dst_unused:UNUSED_PAD src0_sel:WORD_1 src1_sel:DWORD
	v_fma_f16 v27, v9, s21, v26
	s_movk_i32 s17, 0x3b15
	s_mov_b32 s19, 0xba95
	v_add_f16_e32 v25, v27, v25
	v_pk_mul_f16 v27, v8, s22 op_sel_hi:[1,0]
	s_movk_i32 s11, 0x388b
	v_pk_fma_f16 v28, v23, s17, v27 op_sel:[0,0,1] op_sel_hi:[1,0,0]
	v_pk_fma_f16 v27, v23, s17, v27 op_sel:[0,0,1] op_sel_hi:[1,0,0] neg_lo:[0,0,1] neg_hi:[0,0,1]
	s_mov_b32 s20, 0xffff
	v_pk_mul_f16 v30, v9, s19 op_sel_hi:[1,0]
	v_bfi_b32 v29, s20, v28, v27
	v_pk_fma_f16 v31, v13, s11, v30 op_sel:[0,0,1] op_sel_hi:[1,0,0]
	v_pk_fma_f16 v30, v13, s11, v30 op_sel:[0,0,1] op_sel_hi:[1,0,0] neg_lo:[0,0,1] neg_hi:[0,0,1]
	s_mov_b32 s18, 0xbbf1
	v_pk_add_f16 v29, v21, v29
	v_bfi_b32 v32, s20, v31, v30
	v_pk_add_f16 v29, v32, v29
	v_pk_mul_f16 v32, v6, s18 op_sel_hi:[1,0]
	v_pk_fma_f16 v33, v12, s0, v32 op_sel:[0,0,1] op_sel_hi:[1,0,0]
	v_pk_fma_f16 v32, v12, s0, v32 op_sel:[0,0,1] op_sel_hi:[1,0,0] neg_lo:[0,0,1] neg_hi:[0,0,1]
	s_mov_b32 s15, 0xbb7b
	v_bfi_b32 v34, s20, v33, v32
	s_mov_b32 s14, 0xb5ac
	v_pk_add_f16 v29, v34, v29
	v_pk_mul_f16 v34, v7, s15 op_sel_hi:[1,0]
	v_pk_fma_f16 v35, v11, s14, v34 op_sel:[0,0,1] op_sel_hi:[1,0,0]
	v_pk_fma_f16 v34, v11, s14, v34 op_sel:[0,0,1] op_sel_hi:[1,0,0] neg_lo:[0,0,1] neg_hi:[0,0,1]
	s_mov_b32 s10, 0xb94e
	v_bfi_b32 v36, s20, v35, v34
	s_mov_b32 s6, 0xb9fd
	v_pk_add_f16 v29, v36, v29
	v_pk_mul_f16 v36, v2, s10 op_sel_hi:[1,0]
	v_pk_fma_f16 v37, v10, s6, v36 op_sel:[0,0,1] op_sel_hi:[1,0,0]
	v_pk_fma_f16 v36, v10, s6, v36 op_sel:[0,0,1] op_sel_hi:[1,0,0] neg_lo:[0,0,1] neg_hi:[0,0,1]
	s_mov_b32 s1, 0xb3a8
	v_bfi_b32 v38, s20, v37, v36
	v_pk_add_f16 v29, v38, v29
	v_pk_mul_f16 v38, v3, s1 op_sel_hi:[1,0]
	v_pk_fma_f16 v39, v5, s16, v38 op_sel:[0,0,1] op_sel_hi:[1,0,0]
	v_pk_fma_f16 v38, v5, s16, v38 op_sel:[0,0,1] op_sel_hi:[1,0,0] neg_lo:[0,0,1] neg_hi:[0,0,1]
	v_bfi_b32 v40, s20, v39, v38
	v_pk_add_f16 v29, v40, v29
	ds_write2_b32 v22, v24, v29 offset1:1
	v_mul_f16_sdwa v24, v12, s14 dst_sel:DWORD dst_unused:UNUSED_PAD src0_sel:WORD_1 src1_sel:DWORD
	v_fma_f16 v29, v6, s15, v24
	v_add_f16_e32 v25, v29, v25
	v_mul_f16_sdwa v29, v11, s17 dst_sel:DWORD dst_unused:UNUSED_PAD src0_sel:WORD_1 src1_sel:DWORD
	v_fma_f16 v40, v7, s22, v29
	v_add_f16_e32 v25, v40, v25
	s_movk_i32 s23, 0x3a95
	v_mul_f16_sdwa v40, v10, s11 dst_sel:DWORD dst_unused:UNUSED_PAD src0_sel:WORD_1 src1_sel:DWORD
	v_fma_f16 v41, v2, s23, v40
	v_add_f16_e32 v25, v41, v25
	s_movk_i32 s25, 0x394e
	v_mul_f16_sdwa v41, v5, s6 dst_sel:DWORD dst_unused:UNUSED_PAD src0_sel:WORD_1 src1_sel:DWORD
	v_fma_f16 v42, v3, s25, v41
	v_add_f16_e32 v25, v42, v25
	v_mul_f16_sdwa v42, v8, s18 dst_sel:DWORD dst_unused:UNUSED_PAD src0_sel:WORD_1 src1_sel:DWORD
	v_fma_f16 v43, v23, s0, v42
	v_mul_f16_sdwa v44, v9, s1 dst_sel:DWORD dst_unused:UNUSED_PAD src0_sel:WORD_1 src1_sel:DWORD
	v_add_f16_e32 v43, v21, v43
	v_fma_f16 v45, v13, s16, v44
	s_movk_i32 s26, 0x3b7b
	v_add_f16_e32 v43, v45, v43
	v_mul_f16_sdwa v45, v6, s26 dst_sel:DWORD dst_unused:UNUSED_PAD src0_sel:WORD_1 src1_sel:DWORD
	v_fma_f16 v46, v12, s14, v45
	s_movk_i32 s24, 0x3770
	v_add_f16_e32 v43, v46, v43
	v_mul_f16_sdwa v46, v7, s24 dst_sel:DWORD dst_unused:UNUSED_PAD src0_sel:WORD_1 src1_sel:DWORD
	v_fma_f16 v47, v11, s17, v46
	v_add_f16_e32 v43, v47, v43
	v_mul_f16_sdwa v47, v2, s19 dst_sel:DWORD dst_unused:UNUSED_PAD src0_sel:WORD_1 src1_sel:DWORD
	v_fma_f16 v48, v10, s11, v47
	;; [unrolled: 3-line block ×4, first 2 shown]
	v_mul_f16_sdwa v51, v13, s14 dst_sel:DWORD dst_unused:UNUSED_PAD src0_sel:WORD_1 src1_sel:DWORD
	v_add_f16_sdwa v50, v21, v50 dst_sel:DWORD dst_unused:UNUSED_PAD src0_sel:WORD_1 src1_sel:DWORD
	v_fma_f16 v52, v9, s26, v51
	v_add_f16_e32 v50, v52, v50
	v_mul_f16_sdwa v52, v12, s16 dst_sel:DWORD dst_unused:UNUSED_PAD src0_sel:WORD_1 src1_sel:DWORD
	v_fma_f16 v53, v6, s21, v52
	v_add_f16_e32 v50, v53, v50
	v_mul_f16_sdwa v53, v11, s6 dst_sel:DWORD dst_unused:UNUSED_PAD src0_sel:WORD_1 src1_sel:DWORD
	;; [unrolled: 3-line block ×5, first 2 shown]
	v_fma_f16 v57, v23, s11, v56
	v_mul_f16_sdwa v58, v9, s15 dst_sel:DWORD dst_unused:UNUSED_PAD src0_sel:WORD_1 src1_sel:DWORD
	v_add_f16_e32 v57, v21, v57
	v_fma_f16 v59, v13, s14, v58
	v_add_f16_e32 v57, v59, v57
	v_mul_f16_sdwa v59, v6, s1 dst_sel:DWORD dst_unused:UNUSED_PAD src0_sel:WORD_1 src1_sel:DWORD
	v_fma_f16 v60, v12, s16, v59
	v_add_f16_e32 v57, v60, v57
	v_mul_f16_sdwa v60, v7, s25 dst_sel:DWORD dst_unused:UNUSED_PAD src0_sel:WORD_1 src1_sel:DWORD
	;; [unrolled: 3-line block ×4, first 2 shown]
	v_fma_f16 v63, v5, s17, v62
	v_add_f16_e32 v57, v63, v57
	v_pack_b32_f16 v25, v43, v25
	v_pack_b32_f16 v43, v57, v50
	ds_write2_b32 v22, v43, v25 offset0:2 offset1:3
	v_mul_f16_sdwa v25, v23, s6 dst_sel:DWORD dst_unused:UNUSED_PAD src0_sel:WORD_1 src1_sel:DWORD
	v_fma_f16 v43, v8, s25, v25
	v_mul_f16_sdwa v50, v13, s0 dst_sel:DWORD dst_unused:UNUSED_PAD src0_sel:WORD_1 src1_sel:DWORD
	v_add_f16_sdwa v43, v21, v43 dst_sel:DWORD dst_unused:UNUSED_PAD src0_sel:WORD_1 src1_sel:DWORD
	v_fma_f16 v57, v9, s18, v50
	v_add_f16_e32 v43, v57, v43
	v_mul_f16_sdwa v57, v12, s11 dst_sel:DWORD dst_unused:UNUSED_PAD src0_sel:WORD_1 src1_sel:DWORD
	v_fma_f16 v63, v6, s23, v57
	v_add_f16_e32 v43, v63, v43
	v_mul_f16_sdwa v63, v11, s16 dst_sel:DWORD dst_unused:UNUSED_PAD src0_sel:WORD_1 src1_sel:DWORD
	;; [unrolled: 3-line block ×5, first 2 shown]
	v_fma_f16 v67, v23, s6, v66
	v_mul_f16_sdwa v68, v9, s7 dst_sel:DWORD dst_unused:UNUSED_PAD src0_sel:WORD_1 src1_sel:DWORD
	v_add_f16_e32 v67, v21, v67
	v_fma_f16 v69, v13, s0, v68
	v_add_f16_e32 v67, v69, v67
	v_mul_f16_sdwa v69, v6, s19 dst_sel:DWORD dst_unused:UNUSED_PAD src0_sel:WORD_1 src1_sel:DWORD
	v_fma_f16 v70, v12, s11, v69
	v_add_f16_e32 v67, v70, v67
	v_mul_f16_sdwa v70, v7, s21 dst_sel:DWORD dst_unused:UNUSED_PAD src0_sel:WORD_1 src1_sel:DWORD
	;; [unrolled: 3-line block ×5, first 2 shown]
	v_fma_f16 v74, v8, s26, v73
	v_mul_f16_sdwa v75, v13, s6 dst_sel:DWORD dst_unused:UNUSED_PAD src0_sel:WORD_1 src1_sel:DWORD
	v_add_f16_sdwa v74, v21, v74 dst_sel:DWORD dst_unused:UNUSED_PAD src0_sel:WORD_1 src1_sel:DWORD
	v_fma_f16 v76, v9, s10, v75
	v_add_f16_e32 v74, v76, v74
	v_mul_f16_sdwa v76, v12, s17 dst_sel:DWORD dst_unused:UNUSED_PAD src0_sel:WORD_1 src1_sel:DWORD
	v_fma_f16 v77, v6, s22, v76
	v_add_f16_e32 v74, v77, v74
	v_mul_f16_sdwa v77, v11, s0 dst_sel:DWORD dst_unused:UNUSED_PAD src0_sel:WORD_1 src1_sel:DWORD
	;; [unrolled: 3-line block ×5, first 2 shown]
	v_fma_f16 v81, v23, s14, v80
	v_mul_f16_sdwa v82, v9, s25 dst_sel:DWORD dst_unused:UNUSED_PAD src0_sel:WORD_1 src1_sel:DWORD
	v_add_f16_e32 v81, v21, v81
	v_fma_f16 v83, v13, s6, v82
	v_add_f16_e32 v81, v83, v81
	v_mul_f16_sdwa v83, v6, s24 dst_sel:DWORD dst_unused:UNUSED_PAD src0_sel:WORD_1 src1_sel:DWORD
	v_fma_f16 v84, v12, s17, v83
	v_add_f16_e32 v81, v84, v81
	v_mul_f16_sdwa v84, v7, s18 dst_sel:DWORD dst_unused:UNUSED_PAD src0_sel:WORD_1 src1_sel:DWORD
	;; [unrolled: 3-line block ×3, first 2 shown]
	v_fma_f16 v4, v8, s18, v4
	v_fma_f16 v86, v10, s16, v85
	v_add_f16_sdwa v4, v21, v4 dst_sel:DWORD dst_unused:UNUSED_PAD src0_sel:WORD_1 src1_sel:DWORD
	v_fma_f16 v26, v9, s1, v26
	v_add_f16_e32 v81, v86, v81
	v_mul_f16_sdwa v86, v3, s23 dst_sel:DWORD dst_unused:UNUSED_PAD src0_sel:WORD_1 src1_sel:DWORD
	v_add_f16_e32 v4, v26, v4
	v_fma_f16 v24, v6, s26, v24
	v_fma_f16 v87, v5, s11, v86
	v_add_f16_e32 v4, v24, v4
	v_fma_f16 v24, v7, s24, v29
	v_add_f16_e32 v81, v87, v81
	v_add_f16_e32 v4, v24, v4
	v_fma_f16 v24, v2, s19, v40
	v_pack_b32_f16 v43, v67, v43
	v_pack_b32_f16 v67, v81, v74
	v_fma_f16 v25, v8, s10, v25
	v_add_f16_e32 v4, v24, v4
	v_fma_f16 v24, v3, s10, v41
	ds_write2_b32 v22, v67, v43 offset0:4 offset1:5
	v_add_f16_sdwa v25, v21, v25 dst_sel:DWORD dst_unused:UNUSED_PAD src0_sel:WORD_1 src1_sel:DWORD
	v_fma_f16 v43, v9, s7, v50
	v_add_f16_e32 v4, v24, v4
	v_fma_f16 v24, v23, s0, -v42
	v_add_f16_e32 v25, v43, v25
	v_fma_f16 v43, v6, s19, v57
	v_add_f16_e32 v24, v21, v24
	v_fma_f16 v26, v13, s16, -v44
	v_add_f16_e32 v25, v43, v25
	;; [unrolled: 4-line block ×5, first 2 shown]
	v_fma_f16 v43, v23, s6, -v66
	v_add_f16_e32 v24, v26, v24
	v_fma_f16 v26, v5, s6, -v48
	v_add_f16_e32 v43, v21, v43
	;; [unrolled: 2-line block ×3, first 2 shown]
	v_fma_f16 v26, v8, s19, v49
	v_add_f16_e32 v43, v50, v43
	v_fma_f16 v50, v12, s11, -v69
	v_add_f16_sdwa v26, v21, v26 dst_sel:DWORD dst_unused:UNUSED_PAD src0_sel:WORD_1 src1_sel:DWORD
	v_fma_f16 v29, v9, s15, v51
	v_add_f16_e32 v43, v50, v43
	v_fma_f16 v50, v11, s16, -v70
	v_add_f16_e32 v26, v29, v26
	v_fma_f16 v29, v6, s1, v52
	v_add_f16_e32 v43, v50, v43
	v_fma_f16 v50, v10, s17, -v71
	v_add_f16_e32 v26, v29, v26
	v_fma_f16 v29, v7, s25, v53
	v_add_f16_e32 v43, v50, v43
	v_fma_f16 v50, v5, s14, -v72
	v_add_f16_e32 v26, v29, v26
	v_fma_f16 v29, v2, s7, v54
	v_add_f16_e32 v43, v50, v43
	v_fma_f16 v50, v8, s15, v73
	v_add_f16_e32 v26, v29, v26
	v_fma_f16 v29, v3, s24, v55
	v_add_f16_sdwa v50, v21, v50 dst_sel:DWORD dst_unused:UNUSED_PAD src0_sel:WORD_1 src1_sel:DWORD
	v_fma_f16 v57, v9, s25, v75
	v_add_f16_e32 v26, v29, v26
	v_fma_f16 v29, v23, s11, -v56
	v_add_f16_e32 v50, v57, v50
	v_fma_f16 v57, v6, s24, v76
	v_add_f16_e32 v29, v21, v29
	v_fma_f16 v40, v13, s14, -v58
	v_add_f16_e32 v50, v57, v50
	;; [unrolled: 4-line block ×5, first 2 shown]
	v_fma_f16 v57, v23, s14, -v80
	v_add_f16_e32 v29, v40, v29
	v_fma_f16 v40, v5, s17, -v62
	v_pk_mul_f16 v23, v23, s16 op_sel_hi:[1,0]
	v_fma_f16 v63, v13, s6, -v82
	v_add_f16_e32 v29, v40, v29
	v_pk_fma_f16 v40, v8, s1, v23 op_sel:[0,0,1] op_sel_hi:[1,0,0]
	v_pk_mul_f16 v13, v13, s17 op_sel_hi:[1,0]
	v_add_f16_e32 v57, v21, v57
	v_alignbit_b32 v41, s0, v40, 16
	v_pk_fma_f16 v42, v9, s24, v13 op_sel:[0,0,1] op_sel_hi:[1,0,0]
	v_add_f16_e32 v57, v63, v57
	v_fma_f16 v63, v12, s17, -v83
	v_pk_add_f16 v41, v21, v41
	v_alignbit_b32 v44, s0, v42, 16
	v_pk_mul_f16 v12, v12, s6 op_sel_hi:[1,0]
	v_pk_add_f16 v41, v44, v41
	v_pk_fma_f16 v44, v6, s10, v12 op_sel:[0,0,1] op_sel_hi:[1,0,0]
	v_add_f16_e32 v57, v63, v57
	v_fma_f16 v63, v11, s0, -v84
	v_alignbit_b32 v45, s0, v44, 16
	v_pk_mul_f16 v11, v11, s11 op_sel_hi:[1,0]
	v_pk_add_f16 v41, v45, v41
	v_pk_fma_f16 v45, v7, s23, v11 op_sel:[0,0,1] op_sel_hi:[1,0,0]
	v_add_f16_e32 v57, v63, v57
	v_fma_f16 v63, v10, s16, -v85
	;; [unrolled: 6-line block ×3, first 2 shown]
	v_alignbit_b32 v47, s0, v46, 16
	v_pk_mul_f16 v5, v5, s0 op_sel_hi:[1,0]
	v_pk_add_f16 v41, v47, v41
	v_pk_fma_f16 v47, v3, s7, v5 op_sel:[0,0,1] op_sel_hi:[1,0,0]
	v_alignbit_b32 v48, s0, v47, 16
	v_pk_add_f16 v41, v48, v41
	v_alignbit_b32 v48, s0, v21, 16
	v_pk_fma_f16 v8, v8, s1, v23 op_sel:[0,0,1] op_sel_hi:[1,0,0] neg_lo:[1,0,0] neg_hi:[1,0,0]
	v_pk_add_f16 v40, v48, v40
	v_pk_fma_f16 v9, v9, s24, v13 op_sel:[0,0,1] op_sel_hi:[1,0,0] neg_lo:[1,0,0] neg_hi:[1,0,0]
	v_pk_add_f16 v8, v21, v8 op_sel:[1,0] op_sel_hi:[0,1]
	v_pk_add_f16 v40, v42, v40
	v_pk_add_f16 v8, v9, v8
	v_pk_fma_f16 v6, v6, s10, v12 op_sel:[0,0,1] op_sel_hi:[1,0,0] neg_lo:[1,0,0] neg_hi:[1,0,0]
	v_pk_add_f16 v40, v44, v40
	v_pk_add_f16 v6, v6, v8
	v_pk_fma_f16 v7, v7, s23, v11 op_sel:[0,0,1] op_sel_hi:[1,0,0] neg_lo:[1,0,0] neg_hi:[1,0,0]
	;; [unrolled: 3-line block ×4, first 2 shown]
	v_pk_add_f16 v40, v47, v40
	v_pk_add_f16 v2, v3, v2
	v_add_f16_e32 v57, v63, v57
	v_alignbit_b32 v3, v40, v2, 16
	v_pack_b32_f16 v2, v41, v2
	ds_write2_b32 v22, v2, v3 offset0:6 offset1:7
	v_pack_b32_f16 v2, v57, v50
	v_pack_b32_f16 v3, v43, v25
	ds_write2_b32 v22, v3, v2 offset0:8 offset1:9
	v_pack_b32_f16 v2, v29, v26
	v_pack_b32_f16 v3, v24, v4
	ds_write2_b32 v22, v3, v2 offset0:10 offset1:11
	v_bfi_b32 v2, s20, v27, v28
	v_pk_add_f16 v2, v21, v2
	v_bfi_b32 v3, s20, v30, v31
	v_pk_add_f16 v2, v3, v2
	v_bfi_b32 v3, s20, v32, v33
	v_pk_add_f16 v2, v3, v2
	v_bfi_b32 v3, s20, v34, v35
	v_pk_add_f16 v2, v3, v2
	v_bfi_b32 v3, s20, v36, v37
	v_pk_add_f16 v2, v3, v2
	v_bfi_b32 v3, s20, v38, v39
	v_pk_add_f16 v2, v3, v2
	ds_write_b32 v22, v2 offset:48
.LBB0_13:
	s_or_b64 exec, exec, s[4:5]
	v_mul_u32_u24_e32 v2, 9, v14
	v_lshlrev_b32_e32 v10, 2, v2
	s_waitcnt lgkmcnt(0)
	; wave barrier
	s_waitcnt lgkmcnt(0)
	global_load_dwordx4 v[2:5], v10, s[8:9]
	global_load_dwordx4 v[6:9], v10, s[8:9] offset:16
	global_load_dword v25, v10, s[8:9] offset:32
	ds_read2_b32 v[10:11], v20 offset0:13 offset1:26
	ds_read2_b32 v[12:13], v20 offset0:39 offset1:52
	ds_read2_b32 v[21:22], v20 offset0:65 offset1:78
	ds_read2_b32 v[23:24], v20 offset0:91 offset1:104
	ds_read_b32 v26, v19
	ds_read_b32 v27, v20 offset:468
	s_waitcnt lgkmcnt(4)
	v_lshrrev_b32_e32 v36, 16, v13
	s_waitcnt lgkmcnt(3)
	v_lshrrev_b32_e32 v29, 16, v22
	;; [unrolled: 2-line block ×3, first 2 shown]
	v_lshrrev_b32_e32 v31, 16, v24
	v_lshrrev_b32_e32 v34, 16, v11
	;; [unrolled: 1-line block ×3, first 2 shown]
	s_waitcnt lgkmcnt(0)
	v_lshrrev_b32_e32 v32, 16, v27
	v_lshrrev_b32_e32 v33, 16, v10
	;; [unrolled: 1-line block ×3, first 2 shown]
	s_mov_b32 s0, 0xbb9c
	s_movk_i32 s5, 0x3b9c
	s_mov_b32 s1, 0xb8b4
	s_movk_i32 s6, 0x38b4
	v_lshrrev_b32_e32 v28, 16, v26
	s_movk_i32 s4, 0x34f2
	s_waitcnt lgkmcnt(0)
	; wave barrier
	s_waitcnt vmcnt(2)
	v_mul_f16_sdwa v44, v5, v36 dst_sel:DWORD dst_unused:UNUSED_PAD src0_sel:WORD_1 src1_sel:DWORD
	s_waitcnt vmcnt(1)
	v_mul_f16_sdwa v48, v29, v7 dst_sel:DWORD dst_unused:UNUSED_PAD src0_sel:DWORD src1_sel:WORD_1
	v_mul_f16_sdwa v40, v3, v34 dst_sel:DWORD dst_unused:UNUSED_PAD src0_sel:WORD_1 src1_sel:DWORD
	v_mul_f16_sdwa v41, v3, v11 dst_sel:DWORD dst_unused:UNUSED_PAD src0_sel:WORD_1 src1_sel:DWORD
	;; [unrolled: 1-line block ×3, first 2 shown]
	v_mul_f16_sdwa v49, v22, v7 dst_sel:DWORD dst_unused:UNUSED_PAD src0_sel:DWORD src1_sel:WORD_1
	v_mul_f16_sdwa v50, v30, v8 dst_sel:DWORD dst_unused:UNUSED_PAD src0_sel:DWORD src1_sel:WORD_1
	;; [unrolled: 1-line block ×5, first 2 shown]
	v_fma_f16 v13, v5, v13, v44
	v_fma_f16 v22, v22, v7, v48
	v_mul_f16_sdwa v42, v4, v35 dst_sel:DWORD dst_unused:UNUSED_PAD src0_sel:WORD_1 src1_sel:DWORD
	v_mul_f16_sdwa v43, v4, v12 dst_sel:DWORD dst_unused:UNUSED_PAD src0_sel:WORD_1 src1_sel:DWORD
	v_fma_f16 v11, v3, v11, v40
	v_fma_f16 v3, v3, v34, -v41
	v_fma_f16 v23, v23, v8, v50
	v_fma_f16 v8, v30, v8, -v51
	;; [unrolled: 2-line block ×3, first 2 shown]
	v_add_f16_e32 v30, v13, v22
	v_mul_f16_sdwa v38, v2, v33 dst_sel:DWORD dst_unused:UNUSED_PAD src0_sel:WORD_1 src1_sel:DWORD
	v_mul_f16_sdwa v39, v2, v10 dst_sel:DWORD dst_unused:UNUSED_PAD src0_sel:WORD_1 src1_sel:DWORD
	;; [unrolled: 1-line block ×4, first 2 shown]
	s_waitcnt vmcnt(0)
	v_mul_f16_sdwa v54, v32, v25 dst_sel:DWORD dst_unused:UNUSED_PAD src0_sel:DWORD src1_sel:WORD_1
	v_mul_f16_sdwa v55, v27, v25 dst_sel:DWORD dst_unused:UNUSED_PAD src0_sel:DWORD src1_sel:WORD_1
	v_fma_f16 v12, v4, v12, v42
	v_fma_f16 v4, v4, v35, -v43
	v_fma_f16 v5, v5, v36, -v45
	;; [unrolled: 1-line block ×3, first 2 shown]
	v_sub_f16_e32 v31, v3, v9
	v_add_f16_e32 v35, v11, v24
	v_fma_f16 v30, v30, -0.5, v26
	v_fma_f16 v10, v2, v10, v38
	v_fma_f16 v2, v2, v33, -v39
	v_fma_f16 v21, v6, v21, v46
	v_fma_f16 v6, v6, v37, -v47
	;; [unrolled: 2-line block ×3, first 2 shown]
	v_add_f16_e32 v29, v26, v11
	v_sub_f16_e32 v32, v5, v7
	v_sub_f16_e32 v33, v11, v13
	;; [unrolled: 1-line block ×5, first 2 shown]
	v_fma_f16 v26, v35, -0.5, v26
	v_fma_f16 v35, v31, s0, v30
	v_fma_f16 v30, v31, s5, v30
	v_add_f16_e32 v29, v29, v13
	v_add_f16_e32 v33, v33, v34
	;; [unrolled: 1-line block ×3, first 2 shown]
	v_fma_f16 v36, v32, s5, v26
	v_fma_f16 v35, v32, s1, v35
	;; [unrolled: 1-line block ×4, first 2 shown]
	v_add_f16_e32 v32, v5, v7
	v_add_f16_e32 v29, v29, v22
	v_fma_f16 v32, v32, -0.5, v28
	v_sub_f16_e32 v11, v11, v24
	v_add_f16_e32 v29, v29, v24
	v_fma_f16 v36, v31, s1, v36
	v_fma_f16 v26, v31, s6, v26
	;; [unrolled: 1-line block ×3, first 2 shown]
	v_sub_f16_e32 v13, v13, v22
	v_fma_f16 v35, v33, s4, v35
	v_fma_f16 v30, v33, s4, v30
	;; [unrolled: 1-line block ×5, first 2 shown]
	v_sub_f16_e32 v24, v3, v5
	v_sub_f16_e32 v34, v9, v7
	v_fma_f16 v32, v11, s0, v32
	v_add_f16_e32 v31, v28, v3
	v_add_f16_e32 v24, v24, v34
	v_fma_f16 v32, v13, s1, v32
	v_add_f16_e32 v31, v31, v5
	v_fma_f16 v22, v24, s4, v22
	v_fma_f16 v24, v24, s4, v32
	v_add_f16_e32 v32, v3, v9
	v_add_f16_e32 v31, v31, v7
	v_fma_f16 v28, v32, -0.5, v28
	v_add_f16_e32 v31, v31, v9
	v_fma_f16 v32, v13, s0, v28
	v_sub_f16_e32 v3, v5, v3
	v_sub_f16_e32 v5, v7, v9
	v_fma_f16 v7, v13, s5, v28
	v_add_f16_e32 v9, v21, v23
	v_fma_f16 v32, v11, s6, v32
	v_add_f16_e32 v3, v3, v5
	v_fma_f16 v7, v11, s1, v7
	v_fma_f16 v9, v9, -0.5, v10
	v_sub_f16_e32 v11, v4, v25
	v_fma_f16 v5, v3, s4, v32
	v_fma_f16 v13, v11, s0, v9
	v_sub_f16_e32 v28, v6, v8
	v_sub_f16_e32 v32, v12, v21
	;; [unrolled: 1-line block ×3, first 2 shown]
	v_fma_f16 v9, v11, s5, v9
	v_fma_f16 v13, v28, s1, v13
	v_add_f16_e32 v32, v32, v34
	v_fma_f16 v9, v28, s6, v9
	v_fma_f16 v13, v32, s4, v13
	;; [unrolled: 1-line block ×3, first 2 shown]
	v_add_f16_e32 v32, v12, v27
	v_fma_f16 v3, v3, s4, v7
	v_add_f16_e32 v7, v10, v12
	v_fma_f16 v10, v32, -0.5, v10
	v_add_f16_e32 v7, v7, v21
	v_fma_f16 v32, v28, s5, v10
	v_fma_f16 v10, v28, s0, v10
	v_add_f16_e32 v28, v6, v8
	v_add_f16_e32 v7, v7, v23
	v_sub_f16_e32 v34, v21, v12
	v_sub_f16_e32 v36, v23, v27
	v_fma_f16 v28, v28, -0.5, v2
	v_sub_f16_e32 v12, v12, v27
	v_add_f16_e32 v7, v7, v27
	v_fma_f16 v32, v11, s1, v32
	v_add_f16_e32 v34, v34, v36
	v_fma_f16 v10, v11, s6, v10
	v_fma_f16 v27, v12, s5, v28
	v_sub_f16_e32 v21, v21, v23
	v_fma_f16 v32, v34, s4, v32
	v_fma_f16 v10, v34, s4, v10
	;; [unrolled: 1-line block ×3, first 2 shown]
	v_sub_f16_e32 v27, v4, v6
	v_sub_f16_e32 v34, v25, v8
	v_fma_f16 v28, v12, s0, v28
	v_add_f16_e32 v27, v27, v34
	v_fma_f16 v28, v21, s1, v28
	v_fma_f16 v23, v27, s4, v23
	;; [unrolled: 1-line block ×3, first 2 shown]
	v_add_f16_e32 v28, v4, v25
	v_add_f16_e32 v11, v2, v4
	v_fma_f16 v2, v28, -0.5, v2
	v_add_f16_e32 v11, v11, v6
	v_fma_f16 v28, v21, s0, v2
	v_sub_f16_e32 v4, v6, v4
	v_sub_f16_e32 v6, v8, v25
	v_fma_f16 v2, v21, s5, v2
	v_fma_f16 v28, v12, s6, v28
	v_add_f16_e32 v4, v4, v6
	v_fma_f16 v2, v12, s1, v2
	v_add_f16_e32 v11, v11, v8
	v_fma_f16 v6, v4, s4, v28
	v_fma_f16 v2, v4, s4, v2
	v_mul_f16_e32 v8, 0xb8b4, v23
	s_movk_i32 s0, 0x3a79
	v_mul_f16_e32 v23, 0x3a79, v23
	v_add_f16_e32 v11, v11, v25
	v_fma_f16 v8, v13, s0, v8
	v_mul_f16_e32 v21, 0xbb9c, v6
	v_mul_f16_e32 v28, 0xbb9c, v2
	s_mov_b32 s0, 0xb4f2
	v_fma_f16 v13, v13, s6, v23
	v_mul_f16_e32 v6, 0x34f2, v6
	v_mul_f16_e32 v2, 0xb4f2, v2
	v_add_f16_e32 v4, v29, v7
	v_add_f16_e32 v12, v35, v8
	v_fma_f16 v21, v32, s4, v21
	v_fma_f16 v28, v10, s0, v28
	v_mul_f16_e32 v36, 0xb8b4, v27
	s_mov_b32 s0, 0xba79
	v_add_f16_e32 v38, v31, v11
	v_add_f16_e32 v23, v22, v13
	v_fma_f16 v6, v32, s5, v6
	v_fma_f16 v2, v10, s5, v2
	v_mul_f16_e32 v27, 0xba79, v27
	v_add_f16_e32 v25, v33, v21
	v_add_f16_e32 v34, v26, v28
	v_fma_f16 v36, v9, s0, v36
	v_add_f16_e32 v32, v5, v6
	v_add_f16_e32 v10, v3, v2
	v_fma_f16 v9, v9, s6, v27
	v_sub_f16_e32 v5, v5, v6
	v_pack_b32_f16 v4, v4, v38
	v_pack_b32_f16 v6, v12, v23
	v_add_f16_e32 v37, v30, v36
	v_add_f16_e32 v27, v24, v9
	v_sub_f16_e32 v7, v29, v7
	v_sub_f16_e32 v11, v31, v11
	ds_write2_b32 v20, v4, v6 offset1:13
	v_pack_b32_f16 v4, v25, v32
	v_pack_b32_f16 v6, v34, v10
	v_sub_f16_e32 v8, v35, v8
	v_sub_f16_e32 v21, v33, v21
	v_sub_f16_e32 v26, v26, v28
	v_sub_f16_e32 v28, v30, v36
	v_sub_f16_e32 v13, v22, v13
	v_sub_f16_e32 v2, v3, v2
	v_sub_f16_e32 v3, v24, v9
	ds_write2_b32 v20, v4, v6 offset0:26 offset1:39
	v_pack_b32_f16 v4, v37, v27
	v_pack_b32_f16 v6, v7, v11
	ds_write2_b32 v20, v4, v6 offset0:52 offset1:65
	v_pack_b32_f16 v4, v8, v13
	v_pack_b32_f16 v5, v21, v5
	;; [unrolled: 1-line block ×4, first 2 shown]
	ds_write2_b32 v20, v4, v5 offset0:78 offset1:91
	ds_write2_b32 v20, v2, v3 offset0:104 offset1:117
	s_waitcnt lgkmcnt(0)
	; wave barrier
	s_waitcnt lgkmcnt(0)
	s_and_saveexec_b64 s[0:1], vcc
	s_cbranch_execz .LBB0_15
; %bb.14:
	v_mad_u64_u32 v[2:3], s[0:1], s2, v14, 0
	v_mov_b32_e32 v6, s13
	v_add_co_u32_e32 v10, vcc, s12, v0
	v_mad_u64_u32 v[3:4], s[0:1], s3, v14, v[3:4]
	v_mad_u64_u32 v[4:5], s[0:1], s2, v18, 0
	v_addc_co_u32_e32 v11, vcc, v6, v1, vcc
	v_lshlrev_b64 v[0:1], 2, v[2:3]
	ds_read2_b32 v[2:3], v19 offset1:13
	v_mad_u64_u32 v[5:6], s[0:1], s3, v18, v[5:6]
	v_add_co_u32_e32 v0, vcc, v10, v0
	v_addc_co_u32_e32 v1, vcc, v11, v1, vcc
	s_waitcnt lgkmcnt(0)
	global_store_dword v[0:1], v2, off
	v_lshlrev_b64 v[0:1], 2, v[4:5]
	v_mad_u64_u32 v[4:5], s[0:1], s2, v17, 0
	v_add_co_u32_e32 v0, vcc, v10, v0
	v_addc_co_u32_e32 v1, vcc, v11, v1, vcc
	v_mov_b32_e32 v2, v5
	v_mad_u64_u32 v[5:6], s[0:1], s3, v17, v[2:3]
	global_store_dword v[0:1], v3, off
	ds_read2_b32 v[2:3], v19 offset0:26 offset1:39
	v_mad_u64_u32 v[0:1], s[0:1], s2, v16, 0
	v_lshlrev_b64 v[4:5], 2, v[4:5]
	v_add_u32_e32 v8, 0x41, v14
	s_waitcnt lgkmcnt(0)
	v_mad_u64_u32 v[6:7], s[0:1], s3, v16, v[1:2]
	v_add_co_u32_e32 v4, vcc, v10, v4
	v_addc_co_u32_e32 v5, vcc, v11, v5, vcc
	v_mov_b32_e32 v1, v6
	global_store_dword v[4:5], v2, off
	v_lshlrev_b64 v[0:1], 2, v[0:1]
	v_mad_u64_u32 v[4:5], s[0:1], s2, v15, 0
	v_add_co_u32_e32 v0, vcc, v10, v0
	v_addc_co_u32_e32 v1, vcc, v11, v1, vcc
	global_store_dword v[0:1], v3, off
	v_mov_b32_e32 v0, v5
	v_mad_u64_u32 v[0:1], s[0:1], s3, v15, v[0:1]
	v_mad_u64_u32 v[1:2], s[0:1], s2, v8, 0
	v_mov_b32_e32 v5, v0
	ds_read2_b32 v[6:7], v19 offset0:52 offset1:65
	v_mov_b32_e32 v0, v2
	v_lshlrev_b64 v[3:4], 2, v[4:5]
	v_mad_u64_u32 v[8:9], s[0:1], s3, v8, v[0:1]
	v_add_co_u32_e32 v2, vcc, v10, v3
	v_addc_co_u32_e32 v3, vcc, v11, v4, vcc
	s_waitcnt lgkmcnt(0)
	global_store_dword v[2:3], v6, off
	v_mov_b32_e32 v2, v8
	v_add_u32_e32 v4, 0x4e, v14
	v_lshlrev_b64 v[0:1], 2, v[1:2]
	v_mad_u64_u32 v[2:3], s[0:1], s2, v4, 0
	v_add_co_u32_e32 v0, vcc, v10, v0
	v_addc_co_u32_e32 v1, vcc, v11, v1, vcc
	global_store_dword v[0:1], v7, off
	v_mov_b32_e32 v0, v3
	v_mad_u64_u32 v[0:1], s[0:1], s3, v4, v[0:1]
	v_add_u32_e32 v6, 0x5b, v14
	v_mad_u64_u32 v[4:5], s[0:1], s2, v6, 0
	v_mov_b32_e32 v3, v0
	ds_read2_b32 v[0:1], v19 offset0:78 offset1:91
	v_lshlrev_b64 v[2:3], 2, v[2:3]
	v_mad_u64_u32 v[5:6], s[0:1], s3, v6, v[5:6]
	v_add_co_u32_e32 v2, vcc, v10, v2
	v_addc_co_u32_e32 v3, vcc, v11, v3, vcc
	v_add_u32_e32 v6, 0x68, v14
	s_waitcnt lgkmcnt(0)
	global_store_dword v[2:3], v0, off
	v_lshlrev_b64 v[2:3], 2, v[4:5]
	v_mad_u64_u32 v[4:5], s[0:1], s2, v6, 0
	v_add_co_u32_e32 v2, vcc, v10, v2
	v_addc_co_u32_e32 v3, vcc, v11, v3, vcc
	v_mov_b32_e32 v0, v5
	global_store_dword v[2:3], v1, off
	v_mad_u64_u32 v[0:1], s[0:1], s3, v6, v[0:1]
	v_add_u32_e32 v8, 0x75, v14
	v_mad_u64_u32 v[1:2], s[0:1], s2, v8, 0
	v_mov_b32_e32 v5, v0
	ds_read2_b32 v[6:7], v19 offset0:104 offset1:117
	v_mov_b32_e32 v0, v2
	v_lshlrev_b64 v[3:4], 2, v[4:5]
	v_mad_u64_u32 v[8:9], s[0:1], s3, v8, v[0:1]
	v_add_co_u32_e32 v2, vcc, v10, v3
	v_addc_co_u32_e32 v3, vcc, v11, v4, vcc
	s_waitcnt lgkmcnt(0)
	global_store_dword v[2:3], v6, off
	v_mov_b32_e32 v2, v8
	v_lshlrev_b64 v[0:1], 2, v[1:2]
	v_add_co_u32_e32 v0, vcc, v10, v0
	v_addc_co_u32_e32 v1, vcc, v11, v1, vcc
	global_store_dword v[0:1], v7, off
.LBB0_15:
	s_endpgm
	.section	.rodata,"a",@progbits
	.p2align	6, 0x0
	.amdhsa_kernel fft_rtc_back_len130_factors_13_10_wgs_52_tpt_13_half_ip_CI_sbrr_dirReg
		.amdhsa_group_segment_fixed_size 0
		.amdhsa_private_segment_fixed_size 0
		.amdhsa_kernarg_size 88
		.amdhsa_user_sgpr_count 6
		.amdhsa_user_sgpr_private_segment_buffer 1
		.amdhsa_user_sgpr_dispatch_ptr 0
		.amdhsa_user_sgpr_queue_ptr 0
		.amdhsa_user_sgpr_kernarg_segment_ptr 1
		.amdhsa_user_sgpr_dispatch_id 0
		.amdhsa_user_sgpr_flat_scratch_init 0
		.amdhsa_user_sgpr_private_segment_size 0
		.amdhsa_uses_dynamic_stack 0
		.amdhsa_system_sgpr_private_segment_wavefront_offset 0
		.amdhsa_system_sgpr_workgroup_id_x 1
		.amdhsa_system_sgpr_workgroup_id_y 0
		.amdhsa_system_sgpr_workgroup_id_z 0
		.amdhsa_system_sgpr_workgroup_info 0
		.amdhsa_system_vgpr_workitem_id 0
		.amdhsa_next_free_vgpr 88
		.amdhsa_next_free_sgpr 27
		.amdhsa_reserve_vcc 1
		.amdhsa_reserve_flat_scratch 0
		.amdhsa_float_round_mode_32 0
		.amdhsa_float_round_mode_16_64 0
		.amdhsa_float_denorm_mode_32 3
		.amdhsa_float_denorm_mode_16_64 3
		.amdhsa_dx10_clamp 1
		.amdhsa_ieee_mode 1
		.amdhsa_fp16_overflow 0
		.amdhsa_exception_fp_ieee_invalid_op 0
		.amdhsa_exception_fp_denorm_src 0
		.amdhsa_exception_fp_ieee_div_zero 0
		.amdhsa_exception_fp_ieee_overflow 0
		.amdhsa_exception_fp_ieee_underflow 0
		.amdhsa_exception_fp_ieee_inexact 0
		.amdhsa_exception_int_div_zero 0
	.end_amdhsa_kernel
	.text
.Lfunc_end0:
	.size	fft_rtc_back_len130_factors_13_10_wgs_52_tpt_13_half_ip_CI_sbrr_dirReg, .Lfunc_end0-fft_rtc_back_len130_factors_13_10_wgs_52_tpt_13_half_ip_CI_sbrr_dirReg
                                        ; -- End function
	.section	.AMDGPU.csdata,"",@progbits
; Kernel info:
; codeLenInByte = 6688
; NumSgprs: 31
; NumVgprs: 88
; ScratchSize: 0
; MemoryBound: 0
; FloatMode: 240
; IeeeMode: 1
; LDSByteSize: 0 bytes/workgroup (compile time only)
; SGPRBlocks: 3
; VGPRBlocks: 21
; NumSGPRsForWavesPerEU: 31
; NumVGPRsForWavesPerEU: 88
; Occupancy: 2
; WaveLimiterHint : 1
; COMPUTE_PGM_RSRC2:SCRATCH_EN: 0
; COMPUTE_PGM_RSRC2:USER_SGPR: 6
; COMPUTE_PGM_RSRC2:TRAP_HANDLER: 0
; COMPUTE_PGM_RSRC2:TGID_X_EN: 1
; COMPUTE_PGM_RSRC2:TGID_Y_EN: 0
; COMPUTE_PGM_RSRC2:TGID_Z_EN: 0
; COMPUTE_PGM_RSRC2:TIDIG_COMP_CNT: 0
	.type	__hip_cuid_637dbce8d3e56989,@object ; @__hip_cuid_637dbce8d3e56989
	.section	.bss,"aw",@nobits
	.globl	__hip_cuid_637dbce8d3e56989
__hip_cuid_637dbce8d3e56989:
	.byte	0                               ; 0x0
	.size	__hip_cuid_637dbce8d3e56989, 1

	.ident	"AMD clang version 19.0.0git (https://github.com/RadeonOpenCompute/llvm-project roc-6.4.0 25133 c7fe45cf4b819c5991fe208aaa96edf142730f1d)"
	.section	".note.GNU-stack","",@progbits
	.addrsig
	.addrsig_sym __hip_cuid_637dbce8d3e56989
	.amdgpu_metadata
---
amdhsa.kernels:
  - .args:
      - .actual_access:  read_only
        .address_space:  global
        .offset:         0
        .size:           8
        .value_kind:     global_buffer
      - .offset:         8
        .size:           8
        .value_kind:     by_value
      - .actual_access:  read_only
        .address_space:  global
        .offset:         16
        .size:           8
        .value_kind:     global_buffer
      - .actual_access:  read_only
        .address_space:  global
        .offset:         24
        .size:           8
        .value_kind:     global_buffer
      - .offset:         32
        .size:           8
        .value_kind:     by_value
      - .actual_access:  read_only
        .address_space:  global
        .offset:         40
        .size:           8
        .value_kind:     global_buffer
      - .actual_access:  read_only
        .address_space:  global
        .offset:         48
        .size:           8
        .value_kind:     global_buffer
      - .offset:         56
        .size:           4
        .value_kind:     by_value
      - .actual_access:  read_only
        .address_space:  global
        .offset:         64
        .size:           8
        .value_kind:     global_buffer
      - .actual_access:  read_only
        .address_space:  global
        .offset:         72
        .size:           8
        .value_kind:     global_buffer
      - .address_space:  global
        .offset:         80
        .size:           8
        .value_kind:     global_buffer
    .group_segment_fixed_size: 0
    .kernarg_segment_align: 8
    .kernarg_segment_size: 88
    .language:       OpenCL C
    .language_version:
      - 2
      - 0
    .max_flat_workgroup_size: 52
    .name:           fft_rtc_back_len130_factors_13_10_wgs_52_tpt_13_half_ip_CI_sbrr_dirReg
    .private_segment_fixed_size: 0
    .sgpr_count:     31
    .sgpr_spill_count: 0
    .symbol:         fft_rtc_back_len130_factors_13_10_wgs_52_tpt_13_half_ip_CI_sbrr_dirReg.kd
    .uniform_work_group_size: 1
    .uses_dynamic_stack: false
    .vgpr_count:     88
    .vgpr_spill_count: 0
    .wavefront_size: 64
amdhsa.target:   amdgcn-amd-amdhsa--gfx906
amdhsa.version:
  - 1
  - 2
...

	.end_amdgpu_metadata
